;; amdgpu-corpus repo=ROCm/rocFFT kind=compiled arch=gfx1030 opt=O3
	.text
	.amdgcn_target "amdgcn-amd-amdhsa--gfx1030"
	.amdhsa_code_object_version 6
	.protected	bluestein_single_back_len84_dim1_sp_op_CI_CI ; -- Begin function bluestein_single_back_len84_dim1_sp_op_CI_CI
	.globl	bluestein_single_back_len84_dim1_sp_op_CI_CI
	.p2align	8
	.type	bluestein_single_back_len84_dim1_sp_op_CI_CI,@function
bluestein_single_back_len84_dim1_sp_op_CI_CI: ; @bluestein_single_back_len84_dim1_sp_op_CI_CI
; %bb.0:
	s_load_dwordx4 s[12:15], s[4:5], 0x28
	v_mul_u32_u24_e32 v1, 0x1556, v0
	v_lshrrev_b32_e32 v1, 16, v1
	v_mad_u64_u32 v[42:43], null, s6, 10, v[1:2]
	v_mov_b32_e32 v43, 0
                                        ; kill: def $vgpr2 killed $sgpr0 killed $exec
	s_mov_b32 s0, exec_lo
	s_waitcnt lgkmcnt(0)
	v_cmpx_gt_u64_e64 s[12:13], v[42:43]
	s_cbranch_execz .LBB0_18
; %bb.1:
	s_load_dwordx4 s[0:3], s[4:5], 0x18
	v_mul_lo_u16 v1, v1, 12
	v_sub_nc_u16 v18, v0, v1
	v_and_b32_e32 v72, 0xffff, v18
	v_or_b32_e32 v71, 48, v72
	v_lshlrev_b32_e32 v20, 3, v72
	s_waitcnt lgkmcnt(0)
	s_load_dwordx4 s[8:11], s[0:1], 0x0
	s_waitcnt lgkmcnt(0)
	v_mad_u64_u32 v[0:1], null, s10, v42, 0
	v_mad_u64_u32 v[2:3], null, s8, v72, 0
	s_mul_i32 s0, s9, 0x60
	s_mul_hi_u32 s1, s8, 0x60
	s_mul_i32 s6, s8, 0x60
	s_add_i32 s1, s1, s0
	v_mad_u64_u32 v[4:5], null, s11, v42, v[1:2]
	v_mad_u64_u32 v[5:6], null, s9, v72, v[3:4]
	v_mov_b32_e32 v1, v4
	v_lshlrev_b64 v[0:1], 3, v[0:1]
	v_mov_b32_e32 v3, v5
	v_add_co_u32 v14, vcc_lo, s14, v0
	v_lshlrev_b64 v[2:3], 3, v[2:3]
	v_add_co_ci_u32_e32 v15, vcc_lo, s15, v1, vcc_lo
	v_mad_u64_u32 v[0:1], null, s8, v71, 0
	s_load_dwordx4 s[12:15], s[4:5], 0x0
	v_add_co_u32 v2, vcc_lo, v14, v2
	v_add_co_ci_u32_e32 v3, vcc_lo, v15, v3, vcc_lo
	s_waitcnt lgkmcnt(0)
	s_clause 0x2
	global_load_dwordx2 v[55:56], v20, s[12:13]
	global_load_dwordx2 v[53:54], v20, s[12:13] offset:96
	global_load_dwordx2 v[43:44], v20, s[12:13] offset:192
	v_add_co_u32 v4, vcc_lo, v2, s6
	v_add_co_ci_u32_e32 v5, vcc_lo, s1, v3, vcc_lo
	v_mad_u64_u32 v[10:11], null, s9, v71, v[1:2]
	v_add_co_u32 v6, vcc_lo, v4, s6
	v_add_co_ci_u32_e32 v7, vcc_lo, s1, v5, vcc_lo
	global_load_dwordx2 v[2:3], v[2:3], off
	v_add_co_u32 v8, vcc_lo, v6, s6
	v_add_co_ci_u32_e32 v9, vcc_lo, s1, v7, vcc_lo
	v_mov_b32_e32 v1, v10
	s_clause 0x1
	global_load_dwordx2 v[4:5], v[4:5], off
	global_load_dwordx2 v[6:7], v[6:7], off
	v_mad_u64_u32 v[11:12], null, 0xc0, s8, v[8:9]
	v_lshlrev_b64 v[0:1], 3, v[0:1]
	v_mov_b32_e32 v10, v12
	v_add_co_u32 v0, vcc_lo, v14, v0
	v_add_co_ci_u32_e32 v1, vcc_lo, v15, v1, vcc_lo
	v_mad_u64_u32 v[12:13], null, 0xc0, s9, v[10:11]
	s_clause 0x1
	global_load_dwordx2 v[47:48], v20, s[12:13] offset:288
	global_load_dwordx2 v[45:46], v20, s[12:13] offset:384
	s_clause 0x1
	global_load_dwordx2 v[8:9], v[8:9], off
	global_load_dwordx2 v[0:1], v[0:1], off
	v_add_co_u32 v13, vcc_lo, v11, s6
	v_add_co_ci_u32_e32 v14, vcc_lo, s1, v12, vcc_lo
	global_load_dwordx2 v[10:11], v[11:12], off
	s_clause 0x1
	global_load_dwordx2 v[49:50], v20, s[12:13] offset:480
	global_load_dwordx2 v[51:52], v20, s[12:13] offset:576
	global_load_dwordx2 v[12:13], v[13:14], off
	v_mul_hi_u32 v14, 0xcccccccd, v42
	s_load_dwordx4 s[8:11], s[2:3], 0x0
	s_load_dwordx2 s[2:3], s[4:5], 0x38
	v_cmp_gt_u16_e32 vcc_lo, 6, v18
	v_lshrrev_b32_e32 v14, 3, v14
	v_mul_lo_u32 v14, v14, 10
	v_sub_nc_u32_e32 v14, v42, v14
	v_mul_u32_u24_e32 v14, 0x54, v14
	v_lshlrev_b32_e32 v74, 3, v14
	v_add_nc_u32_e32 v73, v20, v74
	s_waitcnt vmcnt(10)
	v_mul_f32_e32 v14, v3, v56
	v_mul_f32_e32 v15, v2, v56
	s_waitcnt vmcnt(9)
	v_mul_f32_e32 v17, v4, v54
	v_fmac_f32_e32 v14, v2, v55
	s_waitcnt vmcnt(8)
	v_mul_f32_e32 v2, v7, v44
	v_mul_f32_e32 v16, v5, v54
	v_fma_f32 v15, v3, v55, -v15
	v_fma_f32 v17, v5, v53, -v17
	v_mul_f32_e32 v3, v6, v44
	v_fmac_f32_e32 v2, v6, v43
	v_fmac_f32_e32 v16, v4, v53
	v_fma_f32 v3, v7, v43, -v3
	s_waitcnt vmcnt(5)
	v_mul_f32_e32 v5, v8, v48
	s_waitcnt vmcnt(4)
	v_mul_f32_e32 v6, v1, v46
	v_mul_f32_e32 v4, v9, v48
	;; [unrolled: 1-line block ×3, first 2 shown]
	v_fma_f32 v5, v9, v47, -v5
	v_fmac_f32_e32 v6, v0, v45
	s_waitcnt vmcnt(2)
	v_mul_f32_e32 v0, v11, v50
	v_mul_f32_e32 v9, v10, v50
	v_fmac_f32_e32 v4, v8, v47
	s_waitcnt vmcnt(0)
	v_mul_f32_e32 v8, v13, v52
	v_mul_f32_e32 v19, v12, v52
	v_fma_f32 v7, v1, v45, -v7
	v_fmac_f32_e32 v0, v10, v49
	v_fma_f32 v1, v11, v49, -v9
	v_fmac_f32_e32 v8, v12, v51
	v_fma_f32 v9, v13, v51, -v19
	ds_write2_b64 v73, v[14:15], v[16:17] offset1:12
	ds_write2_b64 v73, v[2:3], v[4:5] offset0:24 offset1:36
	ds_write2_b64 v73, v[6:7], v[0:1] offset0:48 offset1:60
	ds_write_b64 v73, v[8:9] offset:576
	s_waitcnt lgkmcnt(0)
	s_barrier
	buffer_gl0_inv
	ds_read2_b64 v[0:3], v73 offset1:12
	ds_read_b64 v[12:13], v73 offset:576
	ds_read2_b64 v[4:7], v73 offset0:24 offset1:36
	ds_read2_b64 v[8:11], v73 offset0:48 offset1:60
	v_mul_lo_u16 v14, v18, 7
	s_waitcnt lgkmcnt(0)
	s_barrier
	buffer_gl0_inv
	v_and_b32_e32 v14, 0xffff, v14
	v_lshl_add_u32 v75, v14, 3, v74
	v_add_f32_e32 v14, v2, v12
	v_add_f32_e32 v15, v3, v13
	v_sub_f32_e32 v2, v2, v12
	v_sub_f32_e32 v3, v3, v13
	v_add_f32_e32 v12, v4, v10
	v_add_f32_e32 v13, v5, v11
	v_sub_f32_e32 v4, v4, v10
	v_sub_f32_e32 v5, v5, v11
	;; [unrolled: 4-line block ×4, first 2 shown]
	v_sub_f32_e32 v14, v14, v10
	v_sub_f32_e32 v15, v15, v11
	;; [unrolled: 1-line block ×4, first 2 shown]
	v_add_f32_e32 v19, v6, v4
	v_add_f32_e32 v21, v7, v5
	v_sub_f32_e32 v22, v6, v4
	v_sub_f32_e32 v23, v7, v5
	v_add_f32_e32 v8, v10, v8
	v_add_f32_e32 v9, v11, v9
	v_sub_f32_e32 v4, v4, v2
	v_sub_f32_e32 v5, v5, v3
	;; [unrolled: 1-line block ×4, first 2 shown]
	v_add_f32_e32 v10, v19, v2
	v_add_f32_e32 v11, v21, v3
	v_mul_f32_e32 v14, 0x3f4a47b2, v14
	v_mul_f32_e32 v15, 0x3f4a47b2, v15
	;; [unrolled: 1-line block ×6, first 2 shown]
	v_add_f32_e32 v2, v0, v8
	v_add_f32_e32 v3, v1, v9
	v_mul_f32_e32 v24, 0x3f5ff5aa, v4
	v_mul_f32_e32 v25, 0x3f5ff5aa, v5
	v_fmamk_f32 v0, v12, 0x3d64c772, v14
	v_fmamk_f32 v1, v13, 0x3d64c772, v15
	v_fma_f32 v12, 0x3f3bfb3b, v16, -v19
	v_fma_f32 v13, 0x3f3bfb3b, v17, -v21
	;; [unrolled: 1-line block ×4, first 2 shown]
	v_fmamk_f32 v16, v6, 0x3eae86e6, v22
	v_fmamk_f32 v17, v7, 0x3eae86e6, v23
	v_fma_f32 v19, 0x3f5ff5aa, v4, -v22
	v_fma_f32 v21, 0x3f5ff5aa, v5, -v23
	v_fmamk_f32 v4, v8, 0xbf955555, v2
	v_fmamk_f32 v5, v9, 0xbf955555, v3
	v_fma_f32 v22, 0xbeae86e6, v6, -v24
	v_fma_f32 v23, 0xbeae86e6, v7, -v25
	v_fmac_f32_e32 v16, 0x3ee1c552, v10
	v_fmac_f32_e32 v17, 0x3ee1c552, v11
	v_add_f32_e32 v0, v0, v4
	v_add_f32_e32 v1, v1, v5
	v_fmac_f32_e32 v19, 0x3ee1c552, v10
	v_fmac_f32_e32 v21, 0x3ee1c552, v11
	;; [unrolled: 1-line block ×4, first 2 shown]
	v_add_f32_e32 v10, v12, v4
	v_add_f32_e32 v12, v14, v4
	;; [unrolled: 1-line block ×5, first 2 shown]
	v_sub_f32_e32 v5, v1, v16
	v_add_f32_e32 v6, v23, v12
	v_sub_f32_e32 v7, v14, v22
	v_sub_f32_e32 v8, v10, v21
	v_add_f32_e32 v9, v19, v11
	v_add_f32_e32 v10, v21, v10
	v_sub_f32_e32 v11, v11, v19
	v_sub_f32_e32 v12, v12, v23
	v_add_f32_e32 v13, v22, v14
	v_sub_f32_e32 v0, v0, v17
	v_add_f32_e32 v1, v16, v1
	ds_write2_b64 v75, v[2:3], v[4:5] offset1:1
	ds_write2_b64 v75, v[6:7], v[8:9] offset0:2 offset1:3
	ds_write2_b64 v75, v[10:11], v[12:13] offset0:4 offset1:5
	ds_write_b64 v75, v[0:1] offset:48
	s_waitcnt lgkmcnt(0)
	s_barrier
	buffer_gl0_inv
	ds_read2_b64 v[4:7], v73 offset1:12
	ds_read2_b64 v[8:11], v73 offset0:24 offset1:42
	ds_read2_b64 v[12:15], v73 offset0:54 offset1:66
                                        ; kill: def $vgpr2 killed $sgpr0 killed $exec
	s_and_saveexec_b32 s0, vcc_lo
	s_cbranch_execz .LBB0_3
; %bb.2:
	ds_read2_b64 v[0:3], v73 offset0:36 offset1:78
.LBB0_3:
	s_or_b32 exec_lo, exec_lo, s0
	v_add_co_u32 v21, null, v72, 12
	v_add_nc_u16 v22, v72, 36
	v_add_nc_u16 v19, v72, 24
	v_and_b32_e32 v16, 0xff, v21
	v_and_b32_e32 v18, 0xff, v22
	;; [unrolled: 1-line block ×3, first 2 shown]
	v_mul_lo_u16 v16, v16, 37
	v_mul_lo_u16 v18, v18, 37
	;; [unrolled: 1-line block ×3, first 2 shown]
	v_lshrrev_b16 v23, 8, v16
	v_add_co_u32 v16, s0, v72, -7
	v_lshrrev_b16 v25, 8, v18
	v_lshrrev_b16 v24, 8, v17
	v_sub_nc_u16 v18, v21, v23
	v_add_co_ci_u32_e64 v17, null, 0, -1, s0
	v_sub_nc_u16 v27, v22, v25
	v_cmp_gt_u16_e64 s0, 7, v72
	v_sub_nc_u16 v26, v19, v24
	v_lshrrev_b16 v18, 1, v18
	v_lshrrev_b16 v27, 1, v27
	v_cndmask_b32_e64 v17, v17, 0, s0
	v_cndmask_b32_e64 v16, v16, v72, s0
	v_lshrrev_b16 v26, 1, v26
	v_and_b32_e32 v28, 0x7f, v18
	v_and_b32_e32 v27, 0x7f, v27
	v_lshlrev_b64 v[17:18], 3, v[16:17]
	v_and_b32_e32 v26, 0x7f, v26
	v_add_nc_u16 v23, v28, v23
	v_add_nc_u16 v25, v27, v25
	v_add_co_u32 v17, s0, s14, v17
	v_add_nc_u16 v24, v26, v24
	v_add_co_ci_u32_e64 v18, s0, s15, v18, s0
	v_lshrrev_b16 v23, 2, v23
	v_lshrrev_b16 v25, 2, v25
	;; [unrolled: 1-line block ×3, first 2 shown]
	global_load_dwordx2 v[61:62], v[17:18], off
	v_mov_b32_e32 v26, 3
	v_mul_lo_u16 v17, v23, 7
	v_mul_lo_u16 v18, v25, 7
	v_mul_lo_u16 v25, v24, 7
	v_cmp_lt_u16_e64 s0, 6, v72
	v_sub_nc_u16 v17, v21, v17
	v_sub_nc_u16 v18, v22, v18
	;; [unrolled: 1-line block ×3, first 2 shown]
	v_lshlrev_b32_sdwa v22, v26, v17 dst_sel:DWORD dst_unused:UNUSED_PAD src0_sel:DWORD src1_sel:BYTE_0
	v_and_b32_e32 v77, 0xff, v18
	v_lshlrev_b32_sdwa v18, v26, v19 dst_sel:DWORD dst_unused:UNUSED_PAD src0_sel:DWORD src1_sel:BYTE_0
	v_mad_u16 v17, v23, 14, v17
	v_mad_u16 v19, v24, 14, v19
	global_load_dwordx2 v[65:66], v22, s[14:15]
	v_lshlrev_b32_e32 v22, 3, v77
	s_clause 0x1
	global_load_dwordx2 v[63:64], v18, s[14:15]
	global_load_dwordx2 v[59:60], v22, s[14:15]
	v_cndmask_b32_e64 v18, 0, 14, s0
	s_waitcnt vmcnt(0) lgkmcnt(0)
	s_barrier
	buffer_gl0_inv
	v_add_nc_u32_e32 v16, v16, v18
	v_lshl_add_u32 v79, v16, 3, v74
	v_and_b32_e32 v16, 0xff, v17
	v_and_b32_e32 v17, 0xff, v19
	v_lshl_add_u32 v80, v16, 3, v74
	v_lshl_add_u32 v78, v17, 3, v74
	v_mul_f32_e32 v18, v10, v62
	v_mul_f32_e32 v22, v11, v62
	v_fmac_f32_e32 v18, v11, v61
	v_fma_f32 v10, v10, v61, -v22
	v_sub_f32_e32 v11, v5, v18
	v_sub_f32_e32 v10, v4, v10
	v_fma_f32 v5, v5, 2.0, -v11
	v_fma_f32 v4, v4, 2.0, -v10
	v_mul_f32_e32 v16, v13, v66
	v_mul_f32_e32 v17, v12, v66
	;; [unrolled: 1-line block ×3, first 2 shown]
	v_fma_f32 v12, v12, v65, -v16
	v_mul_f32_e32 v16, v3, v60
	v_mul_f32_e32 v22, v2, v60
	;; [unrolled: 1-line block ×3, first 2 shown]
	v_fmac_f32_e32 v17, v13, v65
	v_fma_f32 v13, v14, v63, -v18
	v_fma_f32 v14, v2, v59, -v16
	v_fmac_f32_e32 v22, v3, v59
	v_fmac_f32_e32 v19, v15, v63
	v_sub_f32_e32 v2, v6, v12
	v_sub_f32_e32 v3, v7, v17
	;; [unrolled: 1-line block ×6, first 2 shown]
	v_fma_f32 v6, v6, 2.0, -v2
	v_fma_f32 v22, v0, 2.0, -v24
	;; [unrolled: 1-line block ×6, first 2 shown]
	ds_write2_b64 v79, v[4:5], v[10:11] offset1:7
	ds_write2_b64 v80, v[6:7], v[2:3] offset1:7
	;; [unrolled: 1-line block ×3, first 2 shown]
	s_and_saveexec_b32 s0, vcc_lo
	s_cbranch_execz .LBB0_5
; %bb.4:
	v_lshl_add_u32 v0, v77, 3, v74
	ds_write2_b64 v0, v[22:23], v[24:25] offset0:70 offset1:77
.LBB0_5:
	s_or_b32 exec_lo, exec_lo, s0
	s_waitcnt lgkmcnt(0)
	s_barrier
	buffer_gl0_inv
	ds_read2_b64 v[16:19], v73 offset1:14
	ds_read2_b64 v[38:41], v73 offset0:28 offset1:42
	ds_read2_b64 v[34:37], v73 offset0:56 offset1:70
	v_add_co_u32 v69, s0, s12, v20
	v_add_co_ci_u32_e64 v70, null, s13, 0, s0
	v_cmp_gt_u16_e64 s0, 2, v72
                                        ; implicit-def: $vgpr26
                                        ; implicit-def: $vgpr30
	s_and_saveexec_b32 s1, s0
	s_cbranch_execz .LBB0_7
; %bb.6:
	ds_read2_b64 v[22:25], v73 offset0:12 offset1:26
	ds_read2_b64 v[26:29], v73 offset0:40 offset1:54
	;; [unrolled: 1-line block ×3, first 2 shown]
.LBB0_7:
	s_or_b32 exec_lo, exec_lo, s1
	v_mad_u64_u32 v[0:1], null, v72, 40, s[14:15]
	v_lshl_add_u32 v76, v72, 3, v74
	s_clause 0x2
	global_load_dwordx4 v[12:15], v[0:1], off offset:56
	global_load_dwordx4 v[8:11], v[0:1], off offset:72
	global_load_dwordx2 v[67:68], v[0:1], off offset:88
	v_add_nc_u32_e32 v0, -2, v72
	v_cndmask_b32_e64 v0, v0, v21, s0
	v_mul_i32_i24_e32 v1, 40, v0
	v_mul_hi_i32_i24_e32 v0, 40, v0
	v_add_co_u32 v20, s1, s14, v1
	v_add_co_ci_u32_e64 v21, s1, s15, v0, s1
	s_clause 0x2
	global_load_dwordx4 v[4:7], v[20:21], off offset:56
	global_load_dwordx4 v[0:3], v[20:21], off offset:72
	global_load_dwordx2 v[57:58], v[20:21], off offset:88
	s_waitcnt vmcnt(5) lgkmcnt(2)
	v_mul_f32_e32 v20, v19, v13
	v_mul_f32_e32 v21, v18, v13
	s_waitcnt lgkmcnt(1)
	v_mul_f32_e32 v81, v39, v15
	v_mul_f32_e32 v82, v38, v15
	s_waitcnt vmcnt(4)
	v_mul_f32_e32 v83, v41, v9
	v_mul_f32_e32 v84, v40, v9
	s_waitcnt lgkmcnt(0)
	v_mul_f32_e32 v85, v35, v11
	v_mul_f32_e32 v86, v34, v11
	s_waitcnt vmcnt(3)
	v_mul_f32_e32 v87, v37, v68
	v_mul_f32_e32 v88, v36, v68
	v_fma_f32 v18, v18, v12, -v20
	v_fmac_f32_e32 v21, v19, v12
	v_fma_f32 v19, v38, v14, -v81
	v_fmac_f32_e32 v82, v39, v14
	;; [unrolled: 2-line block ×5, first 2 shown]
	v_add_f32_e32 v36, v16, v19
	v_add_f32_e32 v37, v19, v34
	v_sub_f32_e32 v38, v82, v86
	v_add_f32_e32 v39, v17, v82
	v_add_f32_e32 v40, v82, v86
	v_add_f32_e32 v81, v20, v35
	v_sub_f32_e32 v82, v84, v88
	v_add_f32_e32 v83, v21, v84
	v_add_f32_e32 v84, v84, v88
	s_waitcnt vmcnt(2)
	v_mul_f32_e32 v87, v24, v5
	v_mul_f32_e32 v90, v26, v7
	s_waitcnt vmcnt(1)
	v_mul_f32_e32 v91, v29, v1
	v_mul_f32_e32 v92, v28, v1
	;; [unrolled: 1-line block ×3, first 2 shown]
	s_waitcnt vmcnt(0)
	v_mul_f32_e32 v95, v33, v58
	v_mul_f32_e32 v96, v32, v58
	v_sub_f32_e32 v19, v19, v34
	v_add_f32_e32 v41, v18, v20
	v_sub_f32_e32 v20, v20, v35
	v_mul_f32_e32 v85, v25, v5
	v_mul_f32_e32 v89, v27, v7
	;; [unrolled: 1-line block ×3, first 2 shown]
	v_fma_f32 v16, -0.5, v37, v16
	v_fma_f32 v17, -0.5, v40, v17
	v_add_f32_e32 v34, v36, v34
	v_add_f32_e32 v36, v39, v86
	v_fmac_f32_e32 v18, -0.5, v81
	v_add_f32_e32 v37, v83, v88
	v_fmac_f32_e32 v21, -0.5, v84
	v_fmac_f32_e32 v87, v25, v4
	v_fmac_f32_e32 v90, v27, v6
	v_fma_f32 v25, v28, v0, -v91
	v_fmac_f32_e32 v92, v29, v0
	v_fmac_f32_e32 v94, v31, v2
	v_fma_f32 v27, v32, v57, -v95
	v_fmac_f32_e32 v96, v33, v57
	v_add_f32_e32 v35, v41, v35
	v_fma_f32 v41, v24, v4, -v85
	v_fma_f32 v24, v26, v6, -v89
	v_fma_f32 v26, v30, v2, -v93
	v_fmamk_f32 v39, v38, 0x3f5db3d7, v16
	v_fmac_f32_e32 v16, 0xbf5db3d7, v38
	v_fmamk_f32 v38, v19, 0xbf5db3d7, v17
	v_fmac_f32_e32 v17, 0x3f5db3d7, v19
	;; [unrolled: 2-line block ×3, first 2 shown]
	v_fmamk_f32 v32, v20, 0xbf5db3d7, v21
	v_add_f32_e32 v29, v36, v37
	v_sub_f32_e32 v31, v36, v37
	v_add_f32_e32 v36, v90, v94
	v_add_f32_e32 v81, v25, v27
	;; [unrolled: 1-line block ×3, first 2 shown]
	v_fmac_f32_e32 v21, 0x3f5db3d7, v20
	v_add_f32_e32 v28, v34, v35
	v_sub_f32_e32 v30, v34, v35
	v_add_f32_e32 v35, v23, v90
	v_sub_f32_e32 v37, v24, v26
	v_add_f32_e32 v40, v41, v25
	v_sub_f32_e32 v82, v92, v96
	v_add_f32_e32 v83, v87, v92
	v_sub_f32_e32 v85, v25, v27
	v_mul_f32_e32 v86, 0x3f5db3d7, v32
	v_mul_f32_e32 v88, -0.5, v18
	v_fmac_f32_e32 v23, -0.5, v36
	v_fmac_f32_e32 v41, -0.5, v81
	;; [unrolled: 1-line block ×3, first 2 shown]
	v_add_f32_e32 v20, v22, v24
	v_add_f32_e32 v33, v24, v26
	v_sub_f32_e32 v34, v90, v94
	v_mul_f32_e32 v89, 0xbf5db3d7, v19
	v_mul_f32_e32 v90, -0.5, v21
	v_fmac_f32_e32 v86, 0.5, v19
	v_fmac_f32_e32 v88, 0x3f5db3d7, v21
	v_fmamk_f32 v21, v37, 0xbf5db3d7, v23
	v_fmac_f32_e32 v23, 0x3f5db3d7, v37
	v_fmamk_f32 v36, v82, 0x3f5db3d7, v41
	;; [unrolled: 2-line block ×3, first 2 shown]
	v_fmac_f32_e32 v87, 0x3f5db3d7, v85
	v_add_f32_e32 v24, v20, v26
	v_fmac_f32_e32 v22, -0.5, v33
	v_add_f32_e32 v26, v40, v27
	v_add_f32_e32 v27, v83, v96
	v_fmac_f32_e32 v89, 0.5, v32
	v_add_f32_e32 v32, v39, v86
	v_sub_f32_e32 v39, v39, v86
	v_mul_f32_e32 v83, 0x3f5db3d7, v37
	v_mul_f32_e32 v84, -0.5, v41
	v_mul_f32_e32 v85, 0xbf5db3d7, v36
	v_mul_f32_e32 v86, -0.5, v87
	v_add_f32_e32 v25, v35, v94
	v_fmac_f32_e32 v90, 0xbf5db3d7, v18
	v_fmamk_f32 v20, v34, 0x3f5db3d7, v22
	v_fmac_f32_e32 v22, 0xbf5db3d7, v34
	v_fmac_f32_e32 v83, 0.5, v36
	v_fmac_f32_e32 v84, 0x3f5db3d7, v87
	v_fmac_f32_e32 v85, 0.5, v37
	v_fmac_f32_e32 v86, 0xbf5db3d7, v41
	v_sub_f32_e32 v18, v24, v26
	v_sub_f32_e32 v19, v25, v27
	v_add_f32_e32 v34, v16, v88
	v_add_f32_e32 v33, v38, v89
	;; [unrolled: 1-line block ×3, first 2 shown]
	v_sub_f32_e32 v40, v38, v89
	v_sub_f32_e32 v81, v16, v88
	;; [unrolled: 1-line block ×3, first 2 shown]
	v_add_f32_e32 v37, v20, v83
	v_add_f32_e32 v16, v22, v84
	;; [unrolled: 1-line block ×4, first 2 shown]
	v_sub_f32_e32 v20, v20, v83
	v_sub_f32_e32 v22, v22, v84
	;; [unrolled: 1-line block ×4, first 2 shown]
	ds_write_b64 v73, v[28:29]
	ds_write2_b64 v76, v[32:33], v[34:35] offset0:14 offset1:28
	ds_write2_b64 v76, v[30:31], v[39:40] offset0:42 offset1:56
	ds_write_b64 v76, v[81:82] offset:560
	s_and_saveexec_b32 s1, s0
	s_cbranch_execz .LBB0_9
; %bb.8:
	v_add_f32_e32 v25, v25, v27
	v_add_f32_e32 v24, v24, v26
	ds_write_b64 v73, v[24:25] offset:96
	ds_write2_b64 v76, v[37:38], v[16:17] offset0:26 offset1:40
	ds_write2_b64 v76, v[18:19], v[20:21] offset0:54 offset1:68
	ds_write_b64 v76, v[22:23] offset:656
.LBB0_9:
	s_or_b32 exec_lo, exec_lo, s1
	s_waitcnt lgkmcnt(0)
	s_barrier
	buffer_gl0_inv
	global_load_dwordx2 v[39:40], v[69:70], off offset:672
	v_lshlrev_b32_e32 v24, 3, v72
	s_add_u32 s4, s12, 0x2a0
	s_addc_u32 s5, s13, 0
	s_clause 0x5
	global_load_dwordx2 v[69:70], v24, s[4:5] offset:96
	global_load_dwordx2 v[81:82], v24, s[4:5] offset:192
	;; [unrolled: 1-line block ×6, first 2 shown]
	ds_read2_b64 v[24:27], v73 offset1:12
	ds_read2_b64 v[28:31], v73 offset0:24 offset1:48
	ds_read_b64 v[91:92], v76 offset:288
	ds_read2_b64 v[32:35], v73 offset0:60 offset1:72
	s_waitcnt vmcnt(6) lgkmcnt(3)
	v_mul_f32_e32 v36, v25, v40
	v_mul_f32_e32 v41, v24, v40
	s_waitcnt vmcnt(2) lgkmcnt(2)
	v_mul_f32_e32 v93, v31, v86
	v_fma_f32 v40, v24, v39, -v36
	v_fmac_f32_e32 v41, v25, v39
	v_mul_f32_e32 v24, v27, v70
	v_mul_f32_e32 v25, v26, v70
	;; [unrolled: 1-line block ×4, first 2 shown]
	s_waitcnt lgkmcnt(1)
	v_mul_f32_e32 v39, v92, v84
	v_mul_f32_e32 v82, v91, v84
	;; [unrolled: 1-line block ×3, first 2 shown]
	s_waitcnt vmcnt(1) lgkmcnt(0)
	v_mul_f32_e32 v94, v33, v88
	v_mul_f32_e32 v86, v32, v88
	s_waitcnt vmcnt(0)
	v_mul_f32_e32 v95, v35, v90
	v_mul_f32_e32 v88, v34, v90
	v_fma_f32 v24, v26, v69, -v24
	v_fmac_f32_e32 v25, v27, v69
	v_fma_f32 v69, v28, v81, -v36
	v_fmac_f32_e32 v70, v29, v81
	;; [unrolled: 2-line block ×6, first 2 shown]
	ds_write2_b64 v73, v[40:41], v[24:25] offset1:12
	ds_write_b64 v76, v[81:82] offset:288
	ds_write2_b64 v73, v[69:70], v[83:84] offset0:24 offset1:48
	ds_write2_b64 v73, v[85:86], v[87:88] offset0:60 offset1:72
	s_waitcnt lgkmcnt(0)
	s_barrier
	buffer_gl0_inv
	ds_read2_b64 v[24:27], v73 offset1:12
	ds_read2_b64 v[28:31], v73 offset0:60 offset1:72
	ds_read2_b64 v[32:35], v73 offset0:24 offset1:48
	ds_read_b64 v[39:40], v76 offset:288
	s_waitcnt lgkmcnt(0)
	s_barrier
	buffer_gl0_inv
	v_add_f32_e32 v36, v26, v30
	v_add_f32_e32 v41, v27, v31
	v_sub_f32_e32 v26, v26, v30
	v_sub_f32_e32 v27, v27, v31
	v_add_f32_e32 v30, v32, v28
	v_add_f32_e32 v31, v33, v29
	v_sub_f32_e32 v28, v32, v28
	v_sub_f32_e32 v29, v33, v29
	v_add_f32_e32 v32, v39, v34
	v_add_f32_e32 v33, v40, v35
	v_sub_f32_e32 v34, v34, v39
	v_sub_f32_e32 v35, v35, v40
	v_add_f32_e32 v39, v30, v36
	v_add_f32_e32 v40, v31, v41
	v_sub_f32_e32 v69, v30, v36
	v_sub_f32_e32 v70, v31, v41
	v_sub_f32_e32 v36, v36, v32
	v_sub_f32_e32 v41, v41, v33
	;; [unrolled: 1-line block ×4, first 2 shown]
	v_add_f32_e32 v81, v34, v28
	v_add_f32_e32 v82, v35, v29
	v_sub_f32_e32 v83, v34, v28
	v_sub_f32_e32 v84, v35, v29
	v_add_f32_e32 v32, v32, v39
	v_add_f32_e32 v33, v33, v40
	v_sub_f32_e32 v28, v28, v26
	v_sub_f32_e32 v29, v29, v27
	;; [unrolled: 1-line block ×4, first 2 shown]
	v_add_f32_e32 v26, v81, v26
	v_add_f32_e32 v27, v82, v27
	v_mul_f32_e32 v36, 0x3f4a47b2, v36
	v_mul_f32_e32 v39, 0x3f4a47b2, v41
	v_mul_f32_e32 v40, 0x3d64c772, v30
	v_mul_f32_e32 v41, 0x3d64c772, v31
	v_mul_f32_e32 v81, 0x3f08b237, v83
	v_mul_f32_e32 v82, 0x3f08b237, v84
	v_add_f32_e32 v24, v24, v32
	v_add_f32_e32 v25, v25, v33
	v_mul_f32_e32 v83, 0xbf5ff5aa, v28
	v_mul_f32_e32 v84, 0xbf5ff5aa, v29
	v_fmamk_f32 v30, v30, 0x3d64c772, v36
	v_fmamk_f32 v31, v31, 0x3d64c772, v39
	v_fma_f32 v40, 0x3f3bfb3b, v69, -v40
	v_fma_f32 v41, 0x3f3bfb3b, v70, -v41
	;; [unrolled: 1-line block ×4, first 2 shown]
	v_fmamk_f32 v69, v34, 0xbeae86e6, v81
	v_fmamk_f32 v70, v35, 0xbeae86e6, v82
	v_fma_f32 v81, 0xbf5ff5aa, v28, -v81
	v_fma_f32 v82, 0xbf5ff5aa, v29, -v82
	v_fmamk_f32 v28, v32, 0xbf955555, v24
	v_fmamk_f32 v29, v33, 0xbf955555, v25
	v_fma_f32 v83, 0x3eae86e6, v34, -v83
	v_fma_f32 v34, 0x3eae86e6, v35, -v84
	v_fmac_f32_e32 v69, 0xbee1c552, v26
	v_fmac_f32_e32 v70, 0xbee1c552, v27
	v_add_f32_e32 v84, v30, v28
	v_add_f32_e32 v85, v31, v29
	v_fmac_f32_e32 v81, 0xbee1c552, v26
	v_fmac_f32_e32 v82, 0xbee1c552, v27
	;; [unrolled: 1-line block ×4, first 2 shown]
	v_add_f32_e32 v32, v40, v28
	v_add_f32_e32 v35, v36, v28
	;; [unrolled: 1-line block ×5, first 2 shown]
	v_sub_f32_e32 v27, v85, v69
	v_add_f32_e32 v28, v34, v35
	v_sub_f32_e32 v29, v36, v83
	v_sub_f32_e32 v30, v32, v82
	v_add_f32_e32 v31, v81, v33
	v_add_f32_e32 v32, v82, v32
	v_sub_f32_e32 v33, v33, v81
	v_sub_f32_e32 v34, v35, v34
	v_add_f32_e32 v35, v83, v36
	v_sub_f32_e32 v39, v84, v70
	v_add_f32_e32 v40, v69, v85
	ds_write2_b64 v75, v[24:25], v[26:27] offset1:1
	ds_write2_b64 v75, v[28:29], v[30:31] offset0:2 offset1:3
	ds_write2_b64 v75, v[32:33], v[34:35] offset0:4 offset1:5
	ds_write_b64 v75, v[39:40] offset:48
	s_waitcnt lgkmcnt(0)
	s_barrier
	buffer_gl0_inv
	ds_read2_b64 v[25:28], v73 offset1:12
	ds_read2_b64 v[29:32], v73 offset0:24 offset1:42
	ds_read2_b64 v[33:36], v73 offset0:54 offset1:66
	s_and_saveexec_b32 s1, vcc_lo
	s_cbranch_execz .LBB0_11
; %bb.10:
	ds_read_b64 v[39:40], v76 offset:288
	ds_read_b64 v[37:38], v73 offset:624
.LBB0_11:
	s_or_b32 exec_lo, exec_lo, s1
	s_waitcnt lgkmcnt(1)
	v_mul_f32_e32 v24, v62, v32
	v_mul_f32_e32 v41, v62, v31
	s_waitcnt lgkmcnt(0)
	v_mul_f32_e32 v62, v66, v34
	v_mul_f32_e32 v69, v64, v36
	;; [unrolled: 1-line block ×3, first 2 shown]
	v_fmac_f32_e32 v24, v61, v31
	v_fma_f32 v32, v61, v32, -v41
	v_mul_f32_e32 v31, v64, v35
	v_fmac_f32_e32 v62, v65, v33
	v_fmac_f32_e32 v69, v63, v35
	v_mul_f32_e32 v41, v60, v38
	v_mul_f32_e32 v35, v60, v37
	v_fma_f32 v61, v63, v36, -v31
	v_sub_f32_e32 v31, v25, v24
	v_sub_f32_e32 v32, v26, v32
	v_fmac_f32_e32 v41, v59, v37
	v_sub_f32_e32 v33, v27, v62
	v_fma_f32 v24, v59, v38, -v35
	v_fma_f32 v34, v65, v34, -v66
	v_fma_f32 v36, v26, 2.0, -v32
	v_sub_f32_e32 v26, v39, v41
	v_fma_f32 v37, v27, 2.0, -v33
	v_sub_f32_e32 v27, v40, v24
	v_sub_f32_e32 v34, v28, v34
	;; [unrolled: 1-line block ×4, first 2 shown]
	v_fma_f32 v35, v25, 2.0, -v31
	v_fma_f32 v24, v39, 2.0, -v26
	;; [unrolled: 1-line block ×6, first 2 shown]
	s_barrier
	buffer_gl0_inv
	ds_write2_b64 v79, v[35:36], v[31:32] offset1:7
	ds_write2_b64 v80, v[37:38], v[33:34] offset1:7
	;; [unrolled: 1-line block ×3, first 2 shown]
	s_and_saveexec_b32 s1, vcc_lo
	s_cbranch_execz .LBB0_13
; %bb.12:
	v_lshl_add_u32 v28, v77, 3, v74
	ds_write2_b64 v28, v[24:25], v[26:27] offset0:70 offset1:77
.LBB0_13:
	s_or_b32 exec_lo, exec_lo, s1
	s_waitcnt lgkmcnt(0)
	s_barrier
	buffer_gl0_inv
	ds_read2_b64 v[28:31], v73 offset1:14
	ds_read2_b64 v[36:39], v73 offset0:28 offset1:42
	ds_read2_b64 v[32:35], v73 offset0:56 offset1:70
	s_and_saveexec_b32 s1, s0
	s_cbranch_execz .LBB0_15
; %bb.14:
	ds_read2_b64 v[24:27], v73 offset0:12 offset1:26
	ds_read2_b64 v[16:19], v73 offset0:40 offset1:54
	ds_read2_b64 v[20:23], v73 offset0:68 offset1:82
.LBB0_15:
	s_or_b32 exec_lo, exec_lo, s1
	s_waitcnt lgkmcnt(2)
	v_mul_f32_e32 v40, v13, v31
	v_mul_f32_e32 v13, v13, v30
	s_waitcnt lgkmcnt(1)
	v_mul_f32_e32 v41, v15, v37
	v_mul_f32_e32 v15, v15, v36
	v_fmac_f32_e32 v40, v12, v30
	s_waitcnt lgkmcnt(0)
	v_mul_f32_e32 v30, v11, v33
	v_fma_f32 v12, v12, v31, -v13
	v_mul_f32_e32 v13, v9, v39
	v_fmac_f32_e32 v41, v14, v36
	v_mul_f32_e32 v9, v9, v38
	v_mul_f32_e32 v11, v11, v32
	v_fmac_f32_e32 v30, v10, v32
	v_fma_f32 v14, v14, v37, -v15
	v_fmac_f32_e32 v13, v8, v38
	v_fma_f32 v8, v8, v39, -v9
	v_mul_f32_e32 v9, v68, v34
	v_fma_f32 v10, v10, v33, -v11
	v_add_f32_e32 v11, v41, v30
	v_mul_f32_e32 v15, v68, v35
	v_add_f32_e32 v31, v28, v41
	v_fma_f32 v9, v67, v35, -v9
	v_add_f32_e32 v32, v14, v10
	v_fma_f32 v33, -0.5, v11, v28
	v_sub_f32_e32 v11, v14, v10
	v_fmac_f32_e32 v15, v67, v34
	v_add_f32_e32 v28, v31, v30
	v_add_f32_e32 v14, v29, v14
	v_fma_f32 v31, -0.5, v32, v29
	v_sub_f32_e32 v29, v41, v30
	v_fmamk_f32 v30, v11, 0xbf5db3d7, v33
	v_fmac_f32_e32 v33, 0x3f5db3d7, v11
	v_add_f32_e32 v11, v8, v9
	v_add_f32_e32 v32, v14, v10
	;; [unrolled: 1-line block ×4, first 2 shown]
	v_sub_f32_e32 v8, v8, v9
	v_fmac_f32_e32 v12, -0.5, v11
	v_sub_f32_e32 v11, v13, v15
	v_add_f32_e32 v13, v40, v13
	v_fmac_f32_e32 v40, -0.5, v10
	v_fmamk_f32 v34, v29, 0x3f5db3d7, v31
	v_fmac_f32_e32 v31, 0xbf5db3d7, v29
	v_fmamk_f32 v10, v11, 0x3f5db3d7, v12
	v_fmac_f32_e32 v12, 0xbf5db3d7, v11
	;; [unrolled: 2-line block ×3, first 2 shown]
	v_add_f32_e32 v15, v13, v15
	v_mul_f32_e32 v29, 0xbf5db3d7, v10
	v_mul_f32_e32 v35, 0xbf5db3d7, v12
	v_mul_f32_e32 v37, 0.5, v10
	v_mul_f32_e32 v38, -0.5, v12
	v_add_f32_e32 v36, v14, v9
	v_fmac_f32_e32 v29, 0.5, v11
	v_fmac_f32_e32 v35, -0.5, v40
	v_fmac_f32_e32 v37, 0x3f5db3d7, v11
	v_fmac_f32_e32 v38, 0x3f5db3d7, v40
	v_add_f32_e32 v8, v28, v15
	v_add_f32_e32 v9, v32, v36
	;; [unrolled: 1-line block ×6, first 2 shown]
	v_sub_f32_e32 v14, v28, v15
	v_sub_f32_e32 v28, v30, v29
	;; [unrolled: 1-line block ×6, first 2 shown]
	ds_write_b64 v73, v[8:9]
	ds_write2_b64 v76, v[10:11], v[12:13] offset0:14 offset1:28
	ds_write2_b64 v76, v[14:15], v[28:29] offset0:42 offset1:56
	ds_write_b64 v76, v[30:31] offset:560
	s_and_saveexec_b32 s1, s0
	s_cbranch_execz .LBB0_17
; %bb.16:
	v_mul_f32_e32 v10, v1, v19
	v_mul_f32_e32 v1, v1, v18
	;; [unrolled: 1-line block ×7, first 2 shown]
	v_fma_f32 v14, v0, v19, -v1
	v_fma_f32 v11, v57, v23, -v11
	v_mul_f32_e32 v5, v5, v27
	v_fmac_f32_e32 v10, v0, v18
	v_fmac_f32_e32 v12, v57, v22
	v_fma_f32 v8, v6, v17, -v8
	v_fma_f32 v9, v2, v21, -v9
	v_fma_f32 v0, v4, v27, -v13
	v_add_f32_e32 v13, v14, v11
	v_mul_f32_e32 v7, v7, v17
	v_mul_f32_e32 v15, v3, v21
	v_fmac_f32_e32 v5, v4, v26
	v_add_f32_e32 v3, v10, v12
	v_add_f32_e32 v1, v8, v9
	v_fma_f32 v4, -0.5, v13, v0
	v_sub_f32_e32 v13, v10, v12
	v_fmac_f32_e32 v7, v6, v16
	v_fmac_f32_e32 v15, v2, v20
	v_fma_f32 v2, -0.5, v3, v5
	v_sub_f32_e32 v3, v14, v11
	v_fmamk_f32 v6, v13, 0xbf5db3d7, v4
	v_fma_f32 v16, -0.5, v1, v25
	v_sub_f32_e32 v17, v7, v15
	v_fmac_f32_e32 v4, 0x3f5db3d7, v13
	v_fmamk_f32 v18, v3, 0x3f5db3d7, v2
	v_fmac_f32_e32 v2, 0xbf5db3d7, v3
	v_add_f32_e32 v3, v7, v15
	v_mul_f32_e32 v19, -0.5, v6
	v_fmamk_f32 v13, v17, 0xbf5db3d7, v16
	v_fmac_f32_e32 v16, 0x3f5db3d7, v17
	v_add_f32_e32 v17, v8, v25
	v_add_f32_e32 v0, v0, v14
	v_mul_f32_e32 v22, 0xbf5db3d7, v6
	v_add_f32_e32 v6, v7, v24
	v_add_f32_e32 v7, v5, v10
	v_mul_f32_e32 v20, 0.5, v4
	v_fma_f32 v14, -0.5, v3, v24
	v_sub_f32_e32 v8, v8, v9
	v_mul_f32_e32 v4, 0xbf5db3d7, v4
	v_add_f32_e32 v17, v9, v17
	v_add_f32_e32 v0, v0, v11
	v_add_f32_e32 v15, v15, v6
	v_add_f32_e32 v12, v7, v12
	v_fmac_f32_e32 v19, 0x3f5db3d7, v18
	v_fmac_f32_e32 v20, 0x3f5db3d7, v2
	v_fmamk_f32 v21, v8, 0x3f5db3d7, v14
	v_fmac_f32_e32 v14, 0xbf5db3d7, v8
	v_fmac_f32_e32 v4, 0.5, v2
	v_fmac_f32_e32 v22, -0.5, v18
	v_add_f32_e32 v11, v0, v17
	v_add_f32_e32 v10, v15, v12
	;; [unrolled: 1-line block ×6, first 2 shown]
	v_sub_f32_e32 v3, v16, v20
	v_sub_f32_e32 v5, v17, v0
	;; [unrolled: 1-line block ×6, first 2 shown]
	ds_write_b64 v73, v[10:11] offset:96
	ds_write2_b64 v76, v[8:9], v[6:7] offset0:26 offset1:40
	ds_write2_b64 v76, v[4:5], v[2:3] offset0:54 offset1:68
	ds_write_b64 v76, v[0:1] offset:656
.LBB0_17:
	s_or_b32 exec_lo, exec_lo, s1
	s_waitcnt lgkmcnt(0)
	s_barrier
	buffer_gl0_inv
	ds_read2_b64 v[0:3], v73 offset1:12
	ds_read_b64 v[16:17], v76 offset:288
	v_mad_u64_u32 v[12:13], null, s10, v42, 0
	v_mad_u64_u32 v[14:15], null, s8, v72, 0
	ds_read2_b64 v[4:7], v73 offset0:24 offset1:48
	ds_read2_b64 v[8:11], v73 offset0:60 offset1:72
	s_mov_b32 s0, 0x18618618
	s_mov_b32 s1, 0x3f886186
	v_mad_u64_u32 v[18:19], null, s11, v42, v[13:14]
	s_waitcnt lgkmcnt(3)
	v_mul_f32_e32 v21, v56, v1
	v_mul_f32_e32 v22, v56, v0
	s_waitcnt lgkmcnt(2)
	v_mad_u64_u32 v[19:20], null, s9, v72, v[15:16]
	v_mul_f32_e32 v15, v54, v3
	v_fmac_f32_e32 v21, v55, v0
	v_fma_f32 v13, v55, v1, -v22
	v_mul_f32_e32 v22, v54, v2
	s_waitcnt lgkmcnt(1)
	v_mul_f32_e32 v24, v44, v5
	v_fmac_f32_e32 v15, v53, v2
	v_cvt_f64_f32_e32 v[0:1], v21
	v_cvt_f64_f32_e32 v[20:21], v13
	v_fma_f32 v13, v53, v3, -v22
	v_mul_f32_e32 v25, v44, v4
	v_cvt_f64_f32_e32 v[2:3], v15
	v_mul_f32_e32 v26, v48, v17
	v_mul_f32_e32 v27, v48, v16
	v_cvt_f64_f32_e32 v[22:23], v13
	s_waitcnt lgkmcnt(0)
	v_mul_f32_e32 v32, v52, v11
	v_mul_f32_e32 v33, v52, v10
	v_mov_b32_e32 v13, v18
	v_fmac_f32_e32 v24, v43, v4
	v_fma_f32 v18, v43, v5, -v25
	v_mul_f32_e32 v28, v46, v7
	v_mul_f32_e32 v29, v46, v6
	v_mov_b32_e32 v15, v19
	v_fmac_f32_e32 v26, v47, v16
	v_fma_f32 v19, v47, v17, -v27
	v_cvt_f64_f32_e32 v[4:5], v24
	v_fmac_f32_e32 v32, v51, v10
	v_fma_f32 v27, v51, v11, -v33
	v_cvt_f64_f32_e32 v[10:11], v18
	v_mul_f64 v[0:1], v[0:1], s[0:1]
	v_mul_f64 v[16:17], v[20:21], s[0:1]
	v_fmac_f32_e32 v28, v45, v6
	v_fma_f32 v24, v45, v7, -v29
	v_lshlrev_b64 v[6:7], 3, v[12:13]
	v_cvt_f64_f32_e32 v[12:13], v26
	v_mul_f32_e32 v30, v50, v9
	v_mul_f32_e32 v31, v50, v8
	v_mul_f64 v[2:3], v[2:3], s[0:1]
	v_cvt_f64_f32_e32 v[18:19], v19
	v_add_co_u32 v36, vcc_lo, s2, v6
	v_fmac_f32_e32 v30, v49, v8
	v_fma_f32 v25, v49, v9, -v31
	v_lshlrev_b64 v[8:9], 3, v[14:15]
	v_mul_f64 v[14:15], v[22:23], s[0:1]
	v_add_co_ci_u32_e32 v37, vcc_lo, s3, v7, vcc_lo
	v_cvt_f64_f32_e32 v[20:21], v28
	v_cvt_f64_f32_e32 v[22:23], v24
	v_add_co_u32 v6, vcc_lo, v36, v8
	v_cvt_f32_f64_e32 v0, v[0:1]
	v_cvt_f32_f64_e32 v1, v[16:17]
	v_add_co_ci_u32_e32 v7, vcc_lo, v37, v9, vcc_lo
	v_cvt_f64_f32_e32 v[8:9], v30
	v_cvt_f64_f32_e32 v[16:17], v25
	;; [unrolled: 1-line block ×4, first 2 shown]
	v_mul_f64 v[4:5], v[4:5], s[0:1]
	v_mul_f64 v[10:11], v[10:11], s[0:1]
	v_mul_f64 v[12:13], v[12:13], s[0:1]
	s_mul_i32 s2, s9, 0x60
	s_mul_hi_u32 s3, s8, 0x60
	v_cvt_f32_f64_e32 v2, v[2:3]
	s_add_i32 s3, s3, s2
	s_mul_i32 s2, s8, 0x60
	v_cvt_f32_f64_e32 v3, v[14:15]
	v_add_co_u32 v14, vcc_lo, v6, s2
	v_mad_u64_u32 v[28:29], null, s8, v71, 0
	v_add_co_ci_u32_e32 v15, vcc_lo, s3, v7, vcc_lo
	v_mul_f64 v[18:19], v[18:19], s[0:1]
	v_mul_f64 v[20:21], v[20:21], s[0:1]
	;; [unrolled: 1-line block ×3, first 2 shown]
	v_add_co_u32 v30, vcc_lo, v14, s2
	v_mul_f64 v[8:9], v[8:9], s[0:1]
	v_mul_f64 v[16:17], v[16:17], s[0:1]
	;; [unrolled: 1-line block ×4, first 2 shown]
	v_cvt_f32_f64_e32 v4, v[4:5]
	v_add_co_ci_u32_e32 v31, vcc_lo, s3, v15, vcc_lo
	v_cvt_f32_f64_e32 v5, v[10:11]
	v_mad_u64_u32 v[10:11], null, s9, v71, v[29:30]
	v_cvt_f32_f64_e32 v11, v[12:13]
	v_add_co_u32 v32, vcc_lo, v30, s2
	v_add_co_ci_u32_e32 v33, vcc_lo, s3, v31, vcc_lo
	global_store_dwordx2 v[6:7], v[0:1], off
	v_mov_b32_e32 v29, v10
	v_cvt_f32_f64_e32 v12, v[18:19]
	v_mad_u64_u32 v[34:35], null, 0xc0, s8, v[32:33]
	v_cvt_f32_f64_e32 v18, v[20:21]
	v_cvt_f32_f64_e32 v19, v[22:23]
	;; [unrolled: 1-line block ×6, first 2 shown]
	v_mov_b32_e32 v10, v35
	v_lshlrev_b64 v[0:1], 3, v[28:29]
	global_store_dwordx2 v[14:15], v[2:3], off
	global_store_dwordx2 v[30:31], v[4:5], off
	v_mad_u64_u32 v[20:21], null, 0xc0, s9, v[10:11]
	v_add_co_u32 v0, vcc_lo, v36, v0
	v_add_co_ci_u32_e32 v1, vcc_lo, v37, v1, vcc_lo
	v_add_co_u32 v2, vcc_lo, v34, s2
	v_mov_b32_e32 v35, v20
	v_add_co_ci_u32_e32 v3, vcc_lo, s3, v35, vcc_lo
	global_store_dwordx2 v[32:33], v[11:12], off
	global_store_dwordx2 v[0:1], v[18:19], off
	;; [unrolled: 1-line block ×4, first 2 shown]
.LBB0_18:
	s_endpgm
	.section	.rodata,"a",@progbits
	.p2align	6, 0x0
	.amdhsa_kernel bluestein_single_back_len84_dim1_sp_op_CI_CI
		.amdhsa_group_segment_fixed_size 6720
		.amdhsa_private_segment_fixed_size 0
		.amdhsa_kernarg_size 104
		.amdhsa_user_sgpr_count 6
		.amdhsa_user_sgpr_private_segment_buffer 1
		.amdhsa_user_sgpr_dispatch_ptr 0
		.amdhsa_user_sgpr_queue_ptr 0
		.amdhsa_user_sgpr_kernarg_segment_ptr 1
		.amdhsa_user_sgpr_dispatch_id 0
		.amdhsa_user_sgpr_flat_scratch_init 0
		.amdhsa_user_sgpr_private_segment_size 0
		.amdhsa_wavefront_size32 1
		.amdhsa_uses_dynamic_stack 0
		.amdhsa_system_sgpr_private_segment_wavefront_offset 0
		.amdhsa_system_sgpr_workgroup_id_x 1
		.amdhsa_system_sgpr_workgroup_id_y 0
		.amdhsa_system_sgpr_workgroup_id_z 0
		.amdhsa_system_sgpr_workgroup_info 0
		.amdhsa_system_vgpr_workitem_id 0
		.amdhsa_next_free_vgpr 97
		.amdhsa_next_free_sgpr 16
		.amdhsa_reserve_vcc 1
		.amdhsa_reserve_flat_scratch 0
		.amdhsa_float_round_mode_32 0
		.amdhsa_float_round_mode_16_64 0
		.amdhsa_float_denorm_mode_32 3
		.amdhsa_float_denorm_mode_16_64 3
		.amdhsa_dx10_clamp 1
		.amdhsa_ieee_mode 1
		.amdhsa_fp16_overflow 0
		.amdhsa_workgroup_processor_mode 1
		.amdhsa_memory_ordered 1
		.amdhsa_forward_progress 0
		.amdhsa_shared_vgpr_count 0
		.amdhsa_exception_fp_ieee_invalid_op 0
		.amdhsa_exception_fp_denorm_src 0
		.amdhsa_exception_fp_ieee_div_zero 0
		.amdhsa_exception_fp_ieee_overflow 0
		.amdhsa_exception_fp_ieee_underflow 0
		.amdhsa_exception_fp_ieee_inexact 0
		.amdhsa_exception_int_div_zero 0
	.end_amdhsa_kernel
	.text
.Lfunc_end0:
	.size	bluestein_single_back_len84_dim1_sp_op_CI_CI, .Lfunc_end0-bluestein_single_back_len84_dim1_sp_op_CI_CI
                                        ; -- End function
	.section	.AMDGPU.csdata,"",@progbits
; Kernel info:
; codeLenInByte = 5896
; NumSgprs: 18
; NumVgprs: 97
; ScratchSize: 0
; MemoryBound: 0
; FloatMode: 240
; IeeeMode: 1
; LDSByteSize: 6720 bytes/workgroup (compile time only)
; SGPRBlocks: 2
; VGPRBlocks: 12
; NumSGPRsForWavesPerEU: 18
; NumVGPRsForWavesPerEU: 97
; Occupancy: 9
; WaveLimiterHint : 1
; COMPUTE_PGM_RSRC2:SCRATCH_EN: 0
; COMPUTE_PGM_RSRC2:USER_SGPR: 6
; COMPUTE_PGM_RSRC2:TRAP_HANDLER: 0
; COMPUTE_PGM_RSRC2:TGID_X_EN: 1
; COMPUTE_PGM_RSRC2:TGID_Y_EN: 0
; COMPUTE_PGM_RSRC2:TGID_Z_EN: 0
; COMPUTE_PGM_RSRC2:TIDIG_COMP_CNT: 0
	.text
	.p2alignl 6, 3214868480
	.fill 48, 4, 3214868480
	.type	__hip_cuid_9bd7cf1e5219831f,@object ; @__hip_cuid_9bd7cf1e5219831f
	.section	.bss,"aw",@nobits
	.globl	__hip_cuid_9bd7cf1e5219831f
__hip_cuid_9bd7cf1e5219831f:
	.byte	0                               ; 0x0
	.size	__hip_cuid_9bd7cf1e5219831f, 1

	.ident	"AMD clang version 19.0.0git (https://github.com/RadeonOpenCompute/llvm-project roc-6.4.0 25133 c7fe45cf4b819c5991fe208aaa96edf142730f1d)"
	.section	".note.GNU-stack","",@progbits
	.addrsig
	.addrsig_sym __hip_cuid_9bd7cf1e5219831f
	.amdgpu_metadata
---
amdhsa.kernels:
  - .args:
      - .actual_access:  read_only
        .address_space:  global
        .offset:         0
        .size:           8
        .value_kind:     global_buffer
      - .actual_access:  read_only
        .address_space:  global
        .offset:         8
        .size:           8
        .value_kind:     global_buffer
      - .actual_access:  read_only
        .address_space:  global
        .offset:         16
        .size:           8
        .value_kind:     global_buffer
      - .actual_access:  read_only
        .address_space:  global
        .offset:         24
        .size:           8
        .value_kind:     global_buffer
      - .actual_access:  read_only
        .address_space:  global
        .offset:         32
        .size:           8
        .value_kind:     global_buffer
      - .offset:         40
        .size:           8
        .value_kind:     by_value
      - .address_space:  global
        .offset:         48
        .size:           8
        .value_kind:     global_buffer
      - .address_space:  global
        .offset:         56
        .size:           8
        .value_kind:     global_buffer
      - .address_space:  global
        .offset:         64
        .size:           8
        .value_kind:     global_buffer
      - .address_space:  global
        .offset:         72
        .size:           8
        .value_kind:     global_buffer
      - .offset:         80
        .size:           4
        .value_kind:     by_value
      - .address_space:  global
        .offset:         88
        .size:           8
        .value_kind:     global_buffer
      - .address_space:  global
        .offset:         96
        .size:           8
        .value_kind:     global_buffer
    .group_segment_fixed_size: 6720
    .kernarg_segment_align: 8
    .kernarg_segment_size: 104
    .language:       OpenCL C
    .language_version:
      - 2
      - 0
    .max_flat_workgroup_size: 120
    .name:           bluestein_single_back_len84_dim1_sp_op_CI_CI
    .private_segment_fixed_size: 0
    .sgpr_count:     18
    .sgpr_spill_count: 0
    .symbol:         bluestein_single_back_len84_dim1_sp_op_CI_CI.kd
    .uniform_work_group_size: 1
    .uses_dynamic_stack: false
    .vgpr_count:     97
    .vgpr_spill_count: 0
    .wavefront_size: 32
    .workgroup_processor_mode: 1
amdhsa.target:   amdgcn-amd-amdhsa--gfx1030
amdhsa.version:
  - 1
  - 2
...

	.end_amdgpu_metadata
